;; amdgpu-corpus repo=ROCm/rocFFT kind=compiled arch=gfx906 opt=O3
	.text
	.amdgcn_target "amdgcn-amd-amdhsa--gfx906"
	.amdhsa_code_object_version 6
	.protected	fft_rtc_back_len972_factors_3_6_3_6_3_wgs_162_tpt_162_halfLds_dp_ip_CI_sbrr_dirReg ; -- Begin function fft_rtc_back_len972_factors_3_6_3_6_3_wgs_162_tpt_162_halfLds_dp_ip_CI_sbrr_dirReg
	.globl	fft_rtc_back_len972_factors_3_6_3_6_3_wgs_162_tpt_162_halfLds_dp_ip_CI_sbrr_dirReg
	.p2align	8
	.type	fft_rtc_back_len972_factors_3_6_3_6_3_wgs_162_tpt_162_halfLds_dp_ip_CI_sbrr_dirReg,@function
fft_rtc_back_len972_factors_3_6_3_6_3_wgs_162_tpt_162_halfLds_dp_ip_CI_sbrr_dirReg: ; @fft_rtc_back_len972_factors_3_6_3_6_3_wgs_162_tpt_162_halfLds_dp_ip_CI_sbrr_dirReg
; %bb.0:
	s_load_dwordx2 s[14:15], s[4:5], 0x18
	s_load_dwordx4 s[8:11], s[4:5], 0x0
	s_load_dwordx2 s[12:13], s[4:5], 0x50
	v_mul_u32_u24_e32 v1, 0x195, v0
	v_add_u32_sdwa v5, s6, v1 dst_sel:DWORD dst_unused:UNUSED_PAD src0_sel:DWORD src1_sel:WORD_1
	s_waitcnt lgkmcnt(0)
	s_load_dwordx2 s[2:3], s[14:15], 0x0
	v_cmp_lt_u64_e64 s[0:1], s[10:11], 2
	v_mov_b32_e32 v3, 0
	v_mov_b32_e32 v1, 0
	;; [unrolled: 1-line block ×3, first 2 shown]
	s_and_b64 vcc, exec, s[0:1]
	v_mov_b32_e32 v2, 0
	s_cbranch_vccnz .LBB0_8
; %bb.1:
	s_load_dwordx2 s[0:1], s[4:5], 0x10
	s_add_u32 s6, s14, 8
	s_addc_u32 s7, s15, 0
	v_mov_b32_e32 v1, 0
	v_mov_b32_e32 v2, 0
	s_waitcnt lgkmcnt(0)
	s_add_u32 s16, s0, 8
	s_addc_u32 s17, s1, 0
	s_mov_b64 s[18:19], 1
.LBB0_2:                                ; =>This Inner Loop Header: Depth=1
	s_load_dwordx2 s[20:21], s[16:17], 0x0
                                        ; implicit-def: $vgpr7_vgpr8
	s_waitcnt lgkmcnt(0)
	v_or_b32_e32 v4, s21, v6
	v_cmp_ne_u64_e32 vcc, 0, v[3:4]
	s_and_saveexec_b64 s[0:1], vcc
	s_xor_b64 s[22:23], exec, s[0:1]
	s_cbranch_execz .LBB0_4
; %bb.3:                                ;   in Loop: Header=BB0_2 Depth=1
	v_cvt_f32_u32_e32 v4, s20
	v_cvt_f32_u32_e32 v7, s21
	s_sub_u32 s0, 0, s20
	s_subb_u32 s1, 0, s21
	v_mac_f32_e32 v4, 0x4f800000, v7
	v_rcp_f32_e32 v4, v4
	v_mul_f32_e32 v4, 0x5f7ffffc, v4
	v_mul_f32_e32 v7, 0x2f800000, v4
	v_trunc_f32_e32 v7, v7
	v_mac_f32_e32 v4, 0xcf800000, v7
	v_cvt_u32_f32_e32 v7, v7
	v_cvt_u32_f32_e32 v4, v4
	v_mul_lo_u32 v8, s0, v7
	v_mul_hi_u32 v9, s0, v4
	v_mul_lo_u32 v11, s1, v4
	v_mul_lo_u32 v10, s0, v4
	v_add_u32_e32 v8, v9, v8
	v_add_u32_e32 v8, v8, v11
	v_mul_hi_u32 v9, v4, v10
	v_mul_lo_u32 v11, v4, v8
	v_mul_hi_u32 v13, v4, v8
	v_mul_hi_u32 v12, v7, v10
	v_mul_lo_u32 v10, v7, v10
	v_mul_hi_u32 v14, v7, v8
	v_add_co_u32_e32 v9, vcc, v9, v11
	v_addc_co_u32_e32 v11, vcc, 0, v13, vcc
	v_mul_lo_u32 v8, v7, v8
	v_add_co_u32_e32 v9, vcc, v9, v10
	v_addc_co_u32_e32 v9, vcc, v11, v12, vcc
	v_addc_co_u32_e32 v10, vcc, 0, v14, vcc
	v_add_co_u32_e32 v8, vcc, v9, v8
	v_addc_co_u32_e32 v9, vcc, 0, v10, vcc
	v_add_co_u32_e32 v4, vcc, v4, v8
	v_addc_co_u32_e32 v7, vcc, v7, v9, vcc
	v_mul_lo_u32 v8, s0, v7
	v_mul_hi_u32 v9, s0, v4
	v_mul_lo_u32 v10, s1, v4
	v_mul_lo_u32 v11, s0, v4
	v_add_u32_e32 v8, v9, v8
	v_add_u32_e32 v8, v8, v10
	v_mul_lo_u32 v12, v4, v8
	v_mul_hi_u32 v13, v4, v11
	v_mul_hi_u32 v14, v4, v8
	;; [unrolled: 1-line block ×3, first 2 shown]
	v_mul_lo_u32 v11, v7, v11
	v_mul_hi_u32 v9, v7, v8
	v_add_co_u32_e32 v12, vcc, v13, v12
	v_addc_co_u32_e32 v13, vcc, 0, v14, vcc
	v_mul_lo_u32 v8, v7, v8
	v_add_co_u32_e32 v11, vcc, v12, v11
	v_addc_co_u32_e32 v10, vcc, v13, v10, vcc
	v_addc_co_u32_e32 v9, vcc, 0, v9, vcc
	v_add_co_u32_e32 v8, vcc, v10, v8
	v_addc_co_u32_e32 v9, vcc, 0, v9, vcc
	v_add_co_u32_e32 v4, vcc, v4, v8
	v_addc_co_u32_e32 v9, vcc, v7, v9, vcc
	v_mad_u64_u32 v[7:8], s[0:1], v5, v9, 0
	v_mul_hi_u32 v10, v5, v4
	v_add_co_u32_e32 v11, vcc, v10, v7
	v_addc_co_u32_e32 v12, vcc, 0, v8, vcc
	v_mad_u64_u32 v[7:8], s[0:1], v6, v4, 0
	v_mad_u64_u32 v[9:10], s[0:1], v6, v9, 0
	v_add_co_u32_e32 v4, vcc, v11, v7
	v_addc_co_u32_e32 v4, vcc, v12, v8, vcc
	v_addc_co_u32_e32 v7, vcc, 0, v10, vcc
	v_add_co_u32_e32 v4, vcc, v4, v9
	v_addc_co_u32_e32 v9, vcc, 0, v7, vcc
	v_mul_lo_u32 v10, s21, v4
	v_mul_lo_u32 v11, s20, v9
	v_mad_u64_u32 v[7:8], s[0:1], s20, v4, 0
	v_add3_u32 v8, v8, v11, v10
	v_sub_u32_e32 v10, v6, v8
	v_mov_b32_e32 v11, s21
	v_sub_co_u32_e32 v7, vcc, v5, v7
	v_subb_co_u32_e64 v10, s[0:1], v10, v11, vcc
	v_subrev_co_u32_e64 v11, s[0:1], s20, v7
	v_subbrev_co_u32_e64 v10, s[0:1], 0, v10, s[0:1]
	v_cmp_le_u32_e64 s[0:1], s21, v10
	v_cndmask_b32_e64 v12, 0, -1, s[0:1]
	v_cmp_le_u32_e64 s[0:1], s20, v11
	v_cndmask_b32_e64 v11, 0, -1, s[0:1]
	v_cmp_eq_u32_e64 s[0:1], s21, v10
	v_cndmask_b32_e64 v10, v12, v11, s[0:1]
	v_add_co_u32_e64 v11, s[0:1], 2, v4
	v_addc_co_u32_e64 v12, s[0:1], 0, v9, s[0:1]
	v_add_co_u32_e64 v13, s[0:1], 1, v4
	v_addc_co_u32_e64 v14, s[0:1], 0, v9, s[0:1]
	v_subb_co_u32_e32 v8, vcc, v6, v8, vcc
	v_cmp_ne_u32_e64 s[0:1], 0, v10
	v_cmp_le_u32_e32 vcc, s21, v8
	v_cndmask_b32_e64 v10, v14, v12, s[0:1]
	v_cndmask_b32_e64 v12, 0, -1, vcc
	v_cmp_le_u32_e32 vcc, s20, v7
	v_cndmask_b32_e64 v7, 0, -1, vcc
	v_cmp_eq_u32_e32 vcc, s21, v8
	v_cndmask_b32_e32 v7, v12, v7, vcc
	v_cmp_ne_u32_e32 vcc, 0, v7
	v_cndmask_b32_e64 v7, v13, v11, s[0:1]
	v_cndmask_b32_e32 v8, v9, v10, vcc
	v_cndmask_b32_e32 v7, v4, v7, vcc
.LBB0_4:                                ;   in Loop: Header=BB0_2 Depth=1
	s_andn2_saveexec_b64 s[0:1], s[22:23]
	s_cbranch_execz .LBB0_6
; %bb.5:                                ;   in Loop: Header=BB0_2 Depth=1
	v_cvt_f32_u32_e32 v4, s20
	s_sub_i32 s22, 0, s20
	v_rcp_iflag_f32_e32 v4, v4
	v_mul_f32_e32 v4, 0x4f7ffffe, v4
	v_cvt_u32_f32_e32 v4, v4
	v_mul_lo_u32 v7, s22, v4
	v_mul_hi_u32 v7, v4, v7
	v_add_u32_e32 v4, v4, v7
	v_mul_hi_u32 v4, v5, v4
	v_mul_lo_u32 v7, v4, s20
	v_add_u32_e32 v8, 1, v4
	v_sub_u32_e32 v7, v5, v7
	v_subrev_u32_e32 v9, s20, v7
	v_cmp_le_u32_e32 vcc, s20, v7
	v_cndmask_b32_e32 v7, v7, v9, vcc
	v_cndmask_b32_e32 v4, v4, v8, vcc
	v_add_u32_e32 v8, 1, v4
	v_cmp_le_u32_e32 vcc, s20, v7
	v_cndmask_b32_e32 v7, v4, v8, vcc
	v_mov_b32_e32 v8, v3
.LBB0_6:                                ;   in Loop: Header=BB0_2 Depth=1
	s_or_b64 exec, exec, s[0:1]
	v_mul_lo_u32 v4, v8, s20
	v_mul_lo_u32 v11, v7, s21
	v_mad_u64_u32 v[9:10], s[0:1], v7, s20, 0
	s_load_dwordx2 s[0:1], s[6:7], 0x0
	s_add_u32 s18, s18, 1
	v_add3_u32 v4, v10, v11, v4
	v_sub_co_u32_e32 v5, vcc, v5, v9
	v_subb_co_u32_e32 v4, vcc, v6, v4, vcc
	s_waitcnt lgkmcnt(0)
	v_mul_lo_u32 v4, s0, v4
	v_mul_lo_u32 v6, s1, v5
	v_mad_u64_u32 v[1:2], s[0:1], s0, v5, v[1:2]
	s_addc_u32 s19, s19, 0
	s_add_u32 s6, s6, 8
	v_add3_u32 v2, v6, v2, v4
	v_mov_b32_e32 v4, s10
	v_mov_b32_e32 v5, s11
	s_addc_u32 s7, s7, 0
	v_cmp_ge_u64_e32 vcc, s[18:19], v[4:5]
	s_add_u32 s16, s16, 8
	s_addc_u32 s17, s17, 0
	s_cbranch_vccnz .LBB0_9
; %bb.7:                                ;   in Loop: Header=BB0_2 Depth=1
	v_mov_b32_e32 v5, v7
	v_mov_b32_e32 v6, v8
	s_branch .LBB0_2
.LBB0_8:
	v_mov_b32_e32 v8, v6
	v_mov_b32_e32 v7, v5
.LBB0_9:
	s_lshl_b64 s[0:1], s[10:11], 3
	s_add_u32 s0, s14, s0
	s_addc_u32 s1, s15, s1
	s_load_dwordx2 s[6:7], s[0:1], 0x0
	s_load_dwordx2 s[10:11], s[4:5], 0x20
                                        ; implicit-def: $vgpr27
	s_waitcnt lgkmcnt(0)
	v_mad_u64_u32 v[1:2], s[0:1], s6, v7, v[1:2]
	s_mov_b32 s0, 0x1948b10
	v_mul_lo_u32 v3, s6, v8
	v_mul_lo_u32 v4, s7, v7
	v_mul_hi_u32 v5, v0, s0
	v_cmp_gt_u64_e32 vcc, s[10:11], v[7:8]
	v_cmp_le_u64_e64 s[0:1], s[10:11], v[7:8]
	v_add3_u32 v2, v4, v2, v3
	v_mul_u32_u24_e32 v3, 0xa2, v5
	v_sub_u32_e32 v26, v0, v3
	s_and_saveexec_b64 s[4:5], s[0:1]
	s_xor_b64 s[0:1], exec, s[4:5]
; %bb.10:
	v_add_u32_e32 v27, 0xa2, v26
; %bb.11:
	s_or_saveexec_b64 s[4:5], s[0:1]
	v_lshlrev_b64 v[24:25], 4, v[1:2]
                                        ; implicit-def: $vgpr6_vgpr7
                                        ; implicit-def: $vgpr10_vgpr11
                                        ; implicit-def: $vgpr2_vgpr3
                                        ; implicit-def: $vgpr18_vgpr19
                                        ; implicit-def: $vgpr22_vgpr23
                                        ; implicit-def: $vgpr14_vgpr15
	s_xor_b64 exec, exec, s[4:5]
	s_cbranch_execz .LBB0_13
; %bb.12:
	v_mad_u64_u32 v[0:1], s[0:1], s2, v26, 0
	v_add_u32_e32 v5, 0x144, v26
	v_mov_b32_e32 v4, s13
	v_mad_u64_u32 v[1:2], s[0:1], s3, v26, v[1:2]
	v_mad_u64_u32 v[2:3], s[0:1], s2, v5, 0
	v_add_co_u32_e64 v8, s[0:1], s12, v24
	v_addc_co_u32_e64 v9, s[0:1], v4, v25, s[0:1]
	v_mad_u64_u32 v[3:4], s[0:1], s3, v5, v[3:4]
	v_add_u32_e32 v6, 0x288, v26
	v_mad_u64_u32 v[4:5], s[0:1], s2, v6, 0
	v_lshlrev_b64 v[0:1], 4, v[0:1]
	v_add_u32_e32 v27, 0xa2, v26
	v_add_co_u32_e64 v28, s[0:1], v8, v0
	v_addc_co_u32_e64 v29, s[0:1], v9, v1, s[0:1]
	v_lshlrev_b64 v[0:1], 4, v[2:3]
	v_mov_b32_e32 v2, v5
	v_mad_u64_u32 v[2:3], s[0:1], s3, v6, v[2:3]
	v_mad_u64_u32 v[6:7], s[0:1], s2, v27, 0
	v_add_co_u32_e64 v30, s[0:1], v8, v0
	v_mov_b32_e32 v5, v2
	v_mov_b32_e32 v2, v7
	v_addc_co_u32_e64 v31, s[0:1], v9, v1, s[0:1]
	v_lshlrev_b64 v[0:1], 4, v[4:5]
	v_mad_u64_u32 v[2:3], s[0:1], s3, v27, v[2:3]
	v_add_u32_e32 v5, 0x1e6, v26
	v_mad_u64_u32 v[3:4], s[0:1], s2, v5, 0
	v_add_co_u32_e64 v32, s[0:1], v8, v0
	v_mov_b32_e32 v7, v2
	v_mov_b32_e32 v2, v4
	v_addc_co_u32_e64 v33, s[0:1], v9, v1, s[0:1]
	v_lshlrev_b64 v[0:1], 4, v[6:7]
	v_mad_u64_u32 v[4:5], s[0:1], s3, v5, v[2:3]
	v_add_u32_e32 v7, 0x32a, v26
	v_mad_u64_u32 v[5:6], s[0:1], s2, v7, 0
	v_add_co_u32_e64 v34, s[0:1], v8, v0
	v_mov_b32_e32 v2, v6
	v_addc_co_u32_e64 v35, s[0:1], v9, v1, s[0:1]
	v_lshlrev_b64 v[0:1], 4, v[3:4]
	v_mad_u64_u32 v[2:3], s[0:1], s3, v7, v[2:3]
	v_add_co_u32_e64 v36, s[0:1], v8, v0
	v_mov_b32_e32 v6, v2
	v_addc_co_u32_e64 v37, s[0:1], v9, v1, s[0:1]
	v_lshlrev_b64 v[0:1], 4, v[5:6]
	v_add_co_u32_e64 v38, s[0:1], v8, v0
	v_addc_co_u32_e64 v39, s[0:1], v9, v1, s[0:1]
	global_load_dwordx4 v[12:15], v[28:29], off
	global_load_dwordx4 v[20:23], v[30:31], off
	;; [unrolled: 1-line block ×6, first 2 shown]
.LBB0_13:
	s_or_b64 exec, exec, s[4:5]
	s_waitcnt vmcnt(3)
	v_add_f64 v[32:33], v[16:17], v[20:21]
	v_add_f64 v[28:29], v[20:21], v[12:13]
	v_add_f64 v[30:31], v[22:23], v[14:15]
	v_add_f64 v[34:35], v[18:19], v[22:23]
	s_waitcnt vmcnt(0)
	v_add_f64 v[36:37], v[4:5], v[8:9]
	v_add_f64 v[22:23], v[22:23], -v[18:19]
	v_add_f64 v[20:21], v[20:21], -v[16:17]
	s_mov_b32 s4, 0xe8584caa
	v_fma_f64 v[12:13], v[32:33], -0.5, v[12:13]
	v_add_f64 v[16:17], v[16:17], v[28:29]
	v_add_f64 v[28:29], v[18:19], v[30:31]
	v_fma_f64 v[18:19], v[34:35], -0.5, v[14:15]
	v_add_f64 v[14:15], v[8:9], v[0:1]
	v_add_f64 v[30:31], v[10:11], v[2:3]
	v_add_f64 v[32:33], v[6:7], v[10:11]
	v_add_f64 v[10:11], v[10:11], -v[6:7]
	v_fma_f64 v[0:1], v[36:37], -0.5, v[0:1]
	s_mov_b32 s5, 0xbfebb67a
	v_add_f64 v[34:35], v[8:9], -v[4:5]
	v_fma_f64 v[8:9], v[22:23], s[4:5], v[12:13]
	s_mov_b32 s7, 0x3febb67a
	s_mov_b32 s6, s4
	v_fma_f64 v[22:23], v[22:23], s[6:7], v[12:13]
	v_add_f64 v[4:5], v[4:5], v[14:15]
	v_fma_f64 v[14:15], v[10:11], s[4:5], v[0:1]
	v_fma_f64 v[0:1], v[10:11], s[6:7], v[0:1]
	v_add_f64 v[10:11], v[6:7], v[30:31]
	v_fma_f64 v[30:31], v[32:33], -0.5, v[2:3]
	v_mad_u32_u24 v12, v26, 24, 0
	ds_write2_b64 v12, v[16:17], v[8:9] offset1:1
	ds_write_b64 v12, v[22:23] offset:16
	v_fma_f64 v[22:23], v[20:21], s[6:7], v[18:19]
	v_fma_f64 v[20:21], v[20:21], s[4:5], v[18:19]
	v_mad_i32_i24 v13, v27, 24, 0
	ds_write2_b64 v13, v[4:5], v[14:15] offset1:1
	ds_write_b64 v13, v[0:1] offset:16
	v_lshlrev_b32_e32 v14, 4, v26
	v_fma_f64 v[32:33], v[34:35], s[6:7], v[30:31]
	v_fma_f64 v[30:31], v[34:35], s[4:5], v[30:31]
	v_sub_u32_e32 v0, v12, v14
	s_movk_i32 s0, 0xab
	v_lshlrev_b32_e32 v15, 4, v27
	v_add_u32_e32 v2, 0x800, v0
	v_add_u32_e32 v3, 0x1400, v0
	v_mul_lo_u16_sdwa v4, v26, s0 dst_sel:DWORD dst_unused:UNUSED_PAD src0_sel:BYTE_0 src1_sel:DWORD
	s_waitcnt lgkmcnt(0)
	s_barrier
	v_sub_u32_e32 v1, v13, v15
	ds_read_b64 v[40:41], v0
	ds_read_b64 v[42:43], v1
	ds_read2_b64 v[5:8], v2 offset0:68 offset1:230
	ds_read2_b64 v[16:19], v3 offset0:8 offset1:170
	s_waitcnt lgkmcnt(0)
	s_barrier
	ds_write2_b64 v12, v[28:29], v[22:23] offset1:1
	ds_write_b64 v12, v[20:21] offset:16
	ds_write2_b64 v13, v[10:11], v[32:33] offset1:1
	ds_write_b64 v13, v[30:31] offset:16
	v_lshrrev_b16_e32 v11, 9, v4
	v_mul_lo_u16_e32 v4, 3, v11
	v_sub_u16_e32 v48, v26, v4
	v_mov_b32_e32 v4, 5
	v_mul_u32_u24_sdwa v9, v48, v4 dst_sel:DWORD dst_unused:UNUSED_PAD src0_sel:BYTE_0 src1_sel:DWORD
	v_lshlrev_b32_e32 v49, 4, v9
	s_waitcnt lgkmcnt(0)
	s_barrier
	global_load_dwordx4 v[20:23], v49, s[8:9] offset:16
	global_load_dwordx4 v[32:35], v49, s[8:9]
	ds_read2_b64 v[28:31], v2 offset0:68 offset1:230
	s_mov_b32 s0, 0xe38f
	s_waitcnt vmcnt(1) lgkmcnt(0)
	v_mul_f64 v[9:10], v[28:29], v[22:23]
	v_mul_f64 v[22:23], v[5:6], v[22:23]
	v_fma_f64 v[9:10], v[5:6], v[20:21], v[9:10]
	v_fma_f64 v[28:29], v[28:29], v[20:21], -v[22:23]
	global_load_dwordx4 v[20:23], v49, s[8:9] offset:32
	global_load_dwordx4 v[36:39], v49, s[8:9] offset:48
	s_waitcnt vmcnt(1)
	v_mul_f64 v[5:6], v[30:31], v[22:23]
	v_fma_f64 v[44:45], v[7:8], v[20:21], v[5:6]
	v_mul_f64 v[5:6], v[7:8], v[22:23]
	v_fma_f64 v[30:31], v[30:31], v[20:21], -v[5:6]
	ds_read2_b64 v[5:8], v3 offset0:8 offset1:170
	s_waitcnt vmcnt(0) lgkmcnt(0)
	v_mul_f64 v[20:21], v[5:6], v[38:39]
	v_fma_f64 v[46:47], v[16:17], v[36:37], v[20:21]
	global_load_dwordx4 v[20:23], v49, s[8:9] offset:64
	v_mul_f64 v[16:17], v[16:17], v[38:39]
	v_fma_f64 v[16:17], v[5:6], v[36:37], -v[16:17]
	s_waitcnt vmcnt(0)
	v_mul_f64 v[5:6], v[7:8], v[22:23]
	v_fma_f64 v[36:37], v[18:19], v[20:21], v[5:6]
	v_mul_f64 v[5:6], v[18:19], v[22:23]
	v_fma_f64 v[6:7], v[7:8], v[20:21], -v[5:6]
	ds_read_b64 v[18:19], v1
	ds_read_b64 v[20:21], v0
	v_mov_b32_e32 v5, 3
	v_mul_u32_u24_e32 v8, 0x90, v11
	v_lshlrev_b32_sdwa v11, v5, v48 dst_sel:DWORD dst_unused:UNUSED_PAD src0_sel:DWORD src1_sel:BYTE_0
	s_waitcnt lgkmcnt(1)
	v_mul_f64 v[22:23], v[18:19], v[34:35]
	v_mul_f64 v[34:35], v[42:43], v[34:35]
	v_add3_u32 v48, 0, v8, v11
	v_add_f64 v[38:39], v[30:31], v[6:7]
	s_waitcnt lgkmcnt(0)
	s_barrier
	v_fma_f64 v[22:23], v[42:43], v[32:33], v[22:23]
	v_fma_f64 v[18:19], v[18:19], v[32:33], -v[34:35]
	v_add_f64 v[34:35], v[44:45], v[36:37]
	v_add_f64 v[42:43], v[44:45], -v[36:37]
	v_add_f64 v[32:33], v[22:23], v[44:45]
	v_fma_f64 v[38:39], v[38:39], -0.5, v[18:19]
	v_fma_f64 v[22:23], v[34:35], -0.5, v[22:23]
	v_add_f64 v[34:35], v[40:41], v[9:10]
	v_add_f64 v[18:19], v[18:19], v[30:31]
	v_add_f64 v[30:31], v[30:31], -v[6:7]
	v_add_f64 v[32:33], v[32:33], v[36:37]
	v_add_f64 v[36:37], v[9:10], v[46:47]
	v_add_f64 v[8:9], v[9:10], -v[46:47]
	v_add_f64 v[34:35], v[34:35], v[46:47]
	v_add_f64 v[6:7], v[18:19], v[6:7]
	v_fma_f64 v[18:19], v[30:31], s[4:5], v[22:23]
	v_fma_f64 v[22:23], v[30:31], s[6:7], v[22:23]
	v_fma_f64 v[10:11], v[36:37], -0.5, v[40:41]
	v_add_f64 v[36:37], v[20:21], v[28:29]
	v_fma_f64 v[40:41], v[42:43], s[6:7], v[38:39]
	v_fma_f64 v[38:39], v[42:43], s[4:5], v[38:39]
	v_add_f64 v[42:43], v[28:29], v[16:17]
	v_add_f64 v[28:29], v[28:29], -v[16:17]
	v_add_f64 v[16:17], v[36:37], v[16:17]
	v_mul_f64 v[36:37], v[40:41], s[4:5]
	v_mul_f64 v[30:31], v[38:39], s[4:5]
	v_fma_f64 v[20:21], v[42:43], -0.5, v[20:21]
	v_fma_f64 v[42:43], v[28:29], s[4:5], v[10:11]
	v_fma_f64 v[10:11], v[28:29], s[6:7], v[10:11]
	v_mul_f64 v[28:29], v[40:41], 0.5
	v_mul_f64 v[38:39], v[38:39], -0.5
	v_add_f64 v[40:41], v[34:35], v[32:33]
	v_fma_f64 v[36:37], v[18:19], 0.5, v[36:37]
	v_add_f64 v[32:33], v[34:35], -v[32:33]
	v_fma_f64 v[34:35], v[8:9], s[6:7], v[20:21]
	v_fma_f64 v[30:31], v[22:23], -0.5, v[30:31]
	v_fma_f64 v[8:9], v[8:9], s[4:5], v[20:21]
	v_fma_f64 v[18:19], v[18:19], s[6:7], v[28:29]
	;; [unrolled: 1-line block ×3, first 2 shown]
	v_add_f64 v[20:21], v[16:17], v[6:7]
	v_add_f64 v[28:29], v[42:43], v[36:37]
	v_add_f64 v[36:37], v[42:43], -v[36:37]
	v_add_f64 v[38:39], v[10:11], v[30:31]
	v_add_f64 v[10:11], v[10:11], -v[30:31]
	;; [unrolled: 2-line block ×4, first 2 shown]
	v_add_f64 v[22:23], v[8:9], -v[22:23]
	ds_write2_b64 v48, v[40:41], v[28:29] offset1:3
	ds_write2_b64 v48, v[38:39], v[32:33] offset0:6 offset1:9
	ds_write2_b64 v48, v[36:37], v[10:11] offset0:12 offset1:15
	s_waitcnt lgkmcnt(0)
	s_barrier
	ds_read_b64 v[10:11], v0
	ds_read_b64 v[40:41], v1
	ds_read2_b64 v[6:9], v2 offset0:68 offset1:230
	ds_read2_b64 v[16:19], v3 offset0:8 offset1:170
	s_waitcnt lgkmcnt(0)
	s_barrier
	ds_write2_b64 v48, v[20:21], v[42:43] offset1:3
	ds_write2_b64 v48, v[44:45], v[30:31] offset0:6 offset1:9
	ds_write2_b64 v48, v[34:35], v[22:23] offset0:12 offset1:15
	v_mov_b32_e32 v20, 57
	v_mul_lo_u16_sdwa v20, v26, v20 dst_sel:DWORD dst_unused:UNUSED_PAD src0_sel:BYTE_0 src1_sel:DWORD
	v_lshrrev_b16_e32 v46, 10, v20
	v_mul_lo_u16_e32 v20, 18, v46
	v_sub_u16_e32 v47, v26, v20
	v_lshlrev_b32_sdwa v32, v4, v47 dst_sel:DWORD dst_unused:UNUSED_PAD src0_sel:DWORD src1_sel:BYTE_0
	s_waitcnt lgkmcnt(0)
	s_barrier
	global_load_dwordx4 v[20:23], v32, s[8:9] offset:240
	ds_read2_b64 v[28:31], v2 offset0:68 offset1:230
	v_mul_u32_u24_sdwa v38, v27, s0 dst_sel:DWORD dst_unused:UNUSED_PAD src0_sel:WORD_0 src1_sel:DWORD
	v_lshrrev_b32_e32 v48, 20, v38
	v_mul_lo_u16_e32 v38, 18, v48
	v_sub_u16_e32 v49, v27, v38
	global_load_dwordx4 v[32:35], v32, s[8:9] offset:256
	s_waitcnt vmcnt(1) lgkmcnt(0)
	v_mul_f64 v[36:37], v[28:29], v[22:23]
	v_mul_f64 v[22:23], v[6:7], v[22:23]
	v_fma_f64 v[42:43], v[6:7], v[20:21], v[36:37]
	v_lshlrev_b32_e32 v6, 5, v49
	v_fma_f64 v[28:29], v[28:29], v[20:21], -v[22:23]
	global_load_dwordx4 v[20:23], v6, s[8:9] offset:240
	global_load_dwordx4 v[36:39], v6, s[8:9] offset:256
	s_waitcnt vmcnt(1)
	v_mul_f64 v[6:7], v[30:31], v[22:23]
	v_fma_f64 v[44:45], v[8:9], v[20:21], v[6:7]
	v_mul_f64 v[6:7], v[8:9], v[22:23]
	v_fma_f64 v[20:21], v[30:31], v[20:21], -v[6:7]
	ds_read2_b64 v[6:9], v3 offset0:8 offset1:170
	v_add_f64 v[30:31], v[10:11], v[42:43]
	s_waitcnt lgkmcnt(0)
	v_mul_f64 v[22:23], v[6:7], v[34:35]
	v_fma_f64 v[22:23], v[16:17], v[32:33], v[22:23]
	v_mul_f64 v[16:17], v[16:17], v[34:35]
	v_mul_u32_u24_e32 v34, 0x1b0, v46
	v_lshlrev_b32_sdwa v35, v5, v47 dst_sel:DWORD dst_unused:UNUSED_PAD src0_sel:DWORD src1_sel:BYTE_0
	v_add3_u32 v46, 0, v34, v35
	ds_read_b64 v[34:35], v1
	v_fma_f64 v[6:7], v[6:7], v[32:33], -v[16:17]
	s_waitcnt vmcnt(0)
	v_mul_f64 v[16:17], v[8:9], v[38:39]
	ds_read_b64 v[32:33], v0
	s_waitcnt lgkmcnt(0)
	s_barrier
	v_fma_f64 v[16:17], v[18:19], v[36:37], v[16:17]
	v_mul_f64 v[18:19], v[18:19], v[38:39]
	v_mov_b32_e32 v38, 19
	v_mul_lo_u16_sdwa v38, v26, v38 dst_sel:DWORD dst_unused:UNUSED_PAD src0_sel:BYTE_0 src1_sel:DWORD
	v_lshrrev_b16_e32 v50, 10, v38
	v_fma_f64 v[8:9], v[8:9], v[36:37], -v[18:19]
	v_add_f64 v[18:19], v[42:43], v[22:23]
	v_add_f64 v[36:37], v[42:43], -v[22:23]
	v_add_f64 v[22:23], v[30:31], v[22:23]
	v_add_f64 v[30:31], v[28:29], v[6:7]
	v_mul_u32_u24_e32 v42, 0x1b0, v48
	v_fma_f64 v[10:11], v[18:19], -0.5, v[10:11]
	v_add_f64 v[18:19], v[32:33], v[28:29]
	v_add_f64 v[28:29], v[28:29], -v[6:7]
	v_add_f64 v[38:39], v[18:19], v[6:7]
	v_add_f64 v[6:7], v[44:45], v[16:17]
	v_fma_f64 v[18:19], v[30:31], -0.5, v[32:33]
	v_add_f64 v[30:31], v[40:41], v[44:45]
	v_lshlrev_b32_e32 v32, 3, v49
	v_add3_u32 v47, 0, v42, v32
	v_mul_lo_u16_e32 v32, 54, v50
	v_sub_u16_e32 v48, v26, v32
	v_add_f64 v[32:33], v[44:45], -v[16:17]
	v_fma_f64 v[6:7], v[6:7], -0.5, v[40:41]
	v_add_f64 v[40:41], v[20:21], v[8:9]
	v_add_f64 v[16:17], v[30:31], v[16:17]
	;; [unrolled: 1-line block ×3, first 2 shown]
	v_add_f64 v[20:21], v[20:21], -v[8:9]
	v_mul_u32_u24_sdwa v4, v48, v4 dst_sel:DWORD dst_unused:UNUSED_PAD src0_sel:BYTE_0 src1_sel:DWORD
	v_lshlrev_b32_e32 v4, 4, v4
	v_lshlrev_b32_sdwa v5, v5, v48 dst_sel:DWORD dst_unused:UNUSED_PAD src0_sel:DWORD src1_sel:BYTE_0
	v_fma_f64 v[34:35], v[40:41], -0.5, v[34:35]
	v_add_f64 v[30:31], v[30:31], v[8:9]
	v_fma_f64 v[8:9], v[28:29], s[4:5], v[10:11]
	v_fma_f64 v[10:11], v[28:29], s[6:7], v[10:11]
	;; [unrolled: 1-line block ×8, first 2 shown]
	ds_write2_b64 v46, v[22:23], v[8:9] offset1:18
	ds_write_b64 v46, v[10:11] offset:288
	ds_write2_b64 v47, v[16:17], v[28:29] offset1:18
	ds_write_b64 v47, v[6:7] offset:288
	s_waitcnt lgkmcnt(0)
	s_barrier
	ds_read_b64 v[10:11], v0
	ds_read_b64 v[42:43], v1
	ds_read2_b64 v[6:9], v2 offset0:68 offset1:230
	ds_read2_b64 v[16:19], v3 offset0:8 offset1:170
	s_waitcnt lgkmcnt(0)
	s_barrier
	ds_write2_b64 v46, v[38:39], v[20:21] offset1:18
	ds_write_b64 v46, v[36:37] offset:288
	ds_write2_b64 v47, v[30:31], v[40:41] offset1:18
	ds_write_b64 v47, v[32:33] offset:288
	s_waitcnt lgkmcnt(0)
	s_barrier
	global_load_dwordx4 v[20:23], v4, s[8:9] offset:832
	global_load_dwordx4 v[32:35], v4, s[8:9] offset:816
	ds_read2_b64 v[28:31], v2 offset0:68 offset1:230
	s_waitcnt vmcnt(1) lgkmcnt(0)
	v_mul_f64 v[36:37], v[28:29], v[22:23]
	v_mul_f64 v[22:23], v[6:7], v[22:23]
	v_fma_f64 v[40:41], v[6:7], v[20:21], v[36:37]
	v_fma_f64 v[28:29], v[28:29], v[20:21], -v[22:23]
	global_load_dwordx4 v[20:23], v4, s[8:9] offset:848
	global_load_dwordx4 v[36:39], v4, s[8:9] offset:864
	s_waitcnt vmcnt(1)
	v_mul_f64 v[6:7], v[30:31], v[22:23]
	v_fma_f64 v[44:45], v[8:9], v[20:21], v[6:7]
	v_mul_f64 v[6:7], v[8:9], v[22:23]
	v_fma_f64 v[30:31], v[30:31], v[20:21], -v[6:7]
	ds_read2_b64 v[6:9], v3 offset0:8 offset1:170
	s_waitcnt vmcnt(0) lgkmcnt(0)
	v_mul_f64 v[20:21], v[6:7], v[38:39]
	v_fma_f64 v[46:47], v[16:17], v[36:37], v[20:21]
	global_load_dwordx4 v[20:23], v4, s[8:9] offset:880
	v_mul_f64 v[16:17], v[16:17], v[38:39]
	v_mul_u32_u24_e32 v4, 0xa20, v50
	v_add_f64 v[38:39], v[40:41], v[46:47]
	v_fma_f64 v[6:7], v[6:7], v[36:37], -v[16:17]
	s_waitcnt vmcnt(0)
	v_mul_f64 v[16:17], v[8:9], v[22:23]
	v_fma_f64 v[16:17], v[18:19], v[20:21], v[16:17]
	v_mul_f64 v[18:19], v[18:19], v[22:23]
	v_add_f64 v[36:37], v[44:45], -v[16:17]
	v_fma_f64 v[8:9], v[8:9], v[20:21], -v[18:19]
	ds_read_b64 v[18:19], v1
	ds_read_b64 v[20:21], v0
	s_waitcnt lgkmcnt(0)
	s_barrier
	v_mul_f64 v[22:23], v[18:19], v[34:35]
	v_mul_f64 v[34:35], v[42:43], v[34:35]
	v_fma_f64 v[22:23], v[42:43], v[32:33], v[22:23]
	v_fma_f64 v[18:19], v[18:19], v[32:33], -v[34:35]
	v_add_f64 v[32:33], v[30:31], v[8:9]
	v_add3_u32 v42, 0, v4, v5
	v_add_f64 v[34:35], v[44:45], v[16:17]
	v_add_u32_e32 v43, 0x400, v42
	v_add_f64 v[4:5], v[22:23], v[44:45]
	v_fma_f64 v[32:33], v[32:33], -0.5, v[18:19]
	v_add_f64 v[18:19], v[18:19], v[30:31]
	v_fma_f64 v[22:23], v[34:35], -0.5, v[22:23]
	v_add_f64 v[34:35], v[20:21], v[28:29]
	v_add_f64 v[30:31], v[30:31], -v[8:9]
	v_add_f64 v[4:5], v[4:5], v[16:17]
	v_add_f64 v[16:17], v[10:11], v[40:41]
	v_fma_f64 v[10:11], v[38:39], -0.5, v[10:11]
	v_fma_f64 v[38:39], v[36:37], s[6:7], v[32:33]
	v_fma_f64 v[32:33], v[36:37], s[4:5], v[32:33]
	v_add_f64 v[36:37], v[28:29], v[6:7]
	v_add_f64 v[28:29], v[28:29], -v[6:7]
	v_add_f64 v[6:7], v[34:35], v[6:7]
	v_add_f64 v[8:9], v[18:19], v[8:9]
	v_fma_f64 v[18:19], v[30:31], s[4:5], v[22:23]
	v_add_f64 v[16:17], v[16:17], v[46:47]
	v_mul_f64 v[34:35], v[38:39], s[4:5]
	v_fma_f64 v[22:23], v[30:31], s[6:7], v[22:23]
	v_mul_f64 v[30:31], v[32:33], s[4:5]
	v_add_f64 v[40:41], v[40:41], -v[46:47]
	v_fma_f64 v[20:21], v[36:37], -0.5, v[20:21]
	v_fma_f64 v[36:37], v[28:29], s[4:5], v[10:11]
	v_fma_f64 v[10:11], v[28:29], s[6:7], v[10:11]
	v_mul_f64 v[28:29], v[38:39], 0.5
	v_mul_f64 v[32:33], v[32:33], -0.5
	v_fma_f64 v[34:35], v[18:19], 0.5, v[34:35]
	v_add_f64 v[38:39], v[16:17], v[4:5]
	v_add_f64 v[4:5], v[16:17], -v[4:5]
	v_fma_f64 v[16:17], v[22:23], -0.5, v[30:31]
	v_fma_f64 v[30:31], v[40:41], s[6:7], v[20:21]
	v_fma_f64 v[20:21], v[40:41], s[4:5], v[20:21]
	;; [unrolled: 1-line block ×4, first 2 shown]
	v_add_f64 v[32:33], v[36:37], v[34:35]
	v_add_f64 v[34:35], v[36:37], -v[34:35]
	v_add_f64 v[28:29], v[6:7], v[8:9]
	v_add_f64 v[36:37], v[10:11], v[16:17]
	v_add_f64 v[10:11], v[10:11], -v[16:17]
	v_add_f64 v[16:17], v[6:7], -v[8:9]
	v_add_f64 v[40:41], v[30:31], v[18:19]
	v_add_f64 v[18:19], v[30:31], -v[18:19]
	v_add_f64 v[30:31], v[20:21], v[22:23]
	ds_write2_b64 v42, v[38:39], v[32:33] offset1:54
	ds_write2_b64 v42, v[36:37], v[4:5] offset0:108 offset1:162
	ds_write2_b64 v43, v[34:35], v[10:11] offset0:88 offset1:142
	s_waitcnt lgkmcnt(0)
	s_barrier
	ds_read_b64 v[10:11], v0
	ds_read_b64 v[8:9], v1
	ds_read2_b64 v[4:7], v2 offset0:68 offset1:230
	ds_read2_b64 v[0:3], v3 offset0:8 offset1:170
	v_add_f64 v[20:21], v[20:21], -v[22:23]
	s_waitcnt lgkmcnt(0)
	s_barrier
	ds_write2_b64 v42, v[28:29], v[40:41] offset1:54
	ds_write2_b64 v42, v[30:31], v[16:17] offset0:108 offset1:162
	ds_write2_b64 v43, v[18:19], v[20:21] offset0:88 offset1:142
	s_waitcnt lgkmcnt(0)
	s_barrier
	s_and_saveexec_b64 s[0:1], vcc
	s_cbranch_execz .LBB0_15
; %bb.14:
	v_lshlrev_b32_e32 v16, 1, v27
	v_mov_b32_e32 v17, 0
	v_lshlrev_b64 v[18:19], 4, v[16:17]
	v_mov_b32_e32 v20, s9
	v_add_co_u32_e32 v16, vcc, s8, v18
	v_addc_co_u32_e32 v27, vcc, v20, v19, vcc
	v_add_co_u32_e32 v35, vcc, 0x1410, v16
	v_addc_co_u32_e32 v36, vcc, 0, v27, vcc
	v_add_co_u32_e32 v37, vcc, 0x1000, v16
	v_lshlrev_b32_e32 v16, 1, v26
	v_lshlrev_b64 v[16:17], 4, v[16:17]
	s_movk_i32 s10, 0x1000
	v_add_co_u32_e64 v21, s[0:1], s8, v16
	v_addc_co_u32_e64 v22, s[0:1], v20, v17, s[0:1]
	v_add_co_u32_e64 v16, s[0:1], s10, v21
	v_addc_co_u32_e64 v17, s[0:1], 0, v22, s[0:1]
	global_load_dwordx4 v[16:19], v[16:17], off offset:1040
	s_movk_i32 s9, 0x1410
	v_add_co_u32_e64 v20, s[0:1], s9, v21
	v_addc_co_u32_e64 v21, s[0:1], 0, v22, s[0:1]
	global_load_dwordx4 v[20:23], v[20:21], off offset:16
	v_addc_co_u32_e32 v38, vcc, 0, v27, vcc
	global_load_dwordx4 v[27:30], v[37:38], off offset:1040
	global_load_dwordx4 v[31:34], v[35:36], off offset:16
	v_sub_u32_e32 v14, 0, v14
	v_sub_u32_e32 v15, 0, v15
	v_mad_u64_u32 v[39:40], s[0:1], s2, v26, 0
	v_mov_b32_e32 v35, s13
	v_add_u32_e32 v47, 0x144, v26
	v_add_u32_e32 v12, v12, v14
	v_add_co_u32_e32 v53, vcc, s12, v24
	v_add_u32_e32 v13, v13, v15
	v_addc_co_u32_e32 v54, vcc, v35, v25, vcc
	v_mad_u64_u32 v[24:25], s[0:1], s2, v47, 0
	v_add_u32_e32 v14, 0x800, v12
	v_add_u32_e32 v35, 0x1400, v12
	ds_read_b64 v[41:42], v13
	ds_read_b64 v[43:44], v12
	ds_read2_b64 v[12:15], v14 offset0:68 offset1:230
	ds_read2_b64 v[35:38], v35 offset0:8 offset1:170
	s_waitcnt lgkmcnt(3)
	v_mad_u64_u32 v[45:46], s[0:1], s3, v26, v[40:41]
	v_mad_u64_u32 v[46:47], s[0:1], s3, v47, v[25:26]
	v_mov_b32_e32 v40, v45
	v_lshlrev_b64 v[39:40], 4, v[39:40]
	v_mov_b32_e32 v25, v46
	v_lshlrev_b64 v[24:25], 4, v[24:25]
	s_waitcnt vmcnt(3)
	v_mul_f64 v[47:48], v[4:5], v[18:19]
	s_waitcnt lgkmcnt(1)
	v_mul_f64 v[18:19], v[12:13], v[18:19]
	s_waitcnt vmcnt(2)
	v_mul_f64 v[45:46], v[0:1], v[22:23]
	s_waitcnt lgkmcnt(0)
	v_mul_f64 v[22:23], v[35:36], v[22:23]
	s_waitcnt vmcnt(1)
	v_mul_f64 v[49:50], v[6:7], v[29:30]
	s_waitcnt vmcnt(0)
	v_mul_f64 v[51:52], v[2:3], v[33:34]
	v_fma_f64 v[12:13], v[12:13], v[16:17], -v[47:48]
	v_fma_f64 v[4:5], v[4:5], v[16:17], v[18:19]
	v_mul_f64 v[16:17], v[14:15], v[29:30]
	v_mul_f64 v[18:19], v[37:38], v[33:34]
	v_fma_f64 v[29:30], v[35:36], v[20:21], -v[45:46]
	v_fma_f64 v[0:1], v[0:1], v[20:21], v[22:23]
	v_fma_f64 v[14:15], v[14:15], v[27:28], -v[49:50]
	v_fma_f64 v[22:23], v[37:38], v[31:32], -v[51:52]
	v_add_co_u32_e32 v20, vcc, v53, v39
	v_fma_f64 v[6:7], v[6:7], v[27:28], v[16:17]
	v_fma_f64 v[16:17], v[2:3], v[31:32], v[18:19]
	v_add_f64 v[2:3], v[12:13], v[29:30]
	v_add_f64 v[18:19], v[4:5], -v[0:1]
	v_add_f64 v[27:28], v[43:44], v[12:13]
	v_add_f64 v[31:32], v[4:5], v[0:1]
	;; [unrolled: 1-line block ×3, first 2 shown]
	v_addc_co_u32_e32 v21, vcc, v54, v40, vcc
	v_add_f64 v[33:34], v[14:15], v[22:23]
	v_add_f64 v[37:38], v[41:42], v[14:15]
	v_add_f64 v[39:40], v[14:15], -v[22:23]
	v_add_f64 v[14:15], v[6:7], v[16:17]
	v_fma_f64 v[43:44], v[2:3], -0.5, v[43:44]
	v_add_f64 v[2:3], v[27:28], v[29:30]
	v_add_f64 v[0:1], v[4:5], v[0:1]
	v_add_f64 v[12:13], v[12:13], -v[29:30]
	v_add_f64 v[35:36], v[6:7], -v[16:17]
	v_add_f64 v[45:46], v[8:9], v[6:7]
	v_fma_f64 v[27:28], v[31:32], -0.5, v[10:11]
	v_add_f64 v[6:7], v[37:38], v[22:23]
	v_fma_f64 v[22:23], v[14:15], -0.5, v[8:9]
	v_fma_f64 v[29:30], v[33:34], -0.5, v[41:42]
	global_store_dwordx4 v[20:21], v[0:3], off
	v_add_co_u32_e32 v20, vcc, v53, v24
	v_add_u32_e32 v24, 0x288, v26
	v_add_f64 v[4:5], v[45:46], v[16:17]
	v_fma_f64 v[14:15], v[18:19], s[6:7], v[43:44]
	v_fma_f64 v[8:9], v[12:13], s[6:7], v[27:28]
	;; [unrolled: 1-line block ×5, first 2 shown]
	v_mad_u64_u32 v[22:23], s[0:1], s2, v24, 0
	v_addc_co_u32_e32 v21, vcc, v54, v25, vcc
	v_add_u32_e32 v25, 0xa2, v26
	s_mov_b32 s0, 0xca4587e7
	v_mul_hi_u32 v26, v25, s0
	v_fma_f64 v[10:11], v[18:19], s[4:5], v[43:44]
	v_mad_u64_u32 v[23:24], s[0:1], s3, v24, v[23:24]
	v_fma_f64 v[2:3], v[35:36], s[4:5], v[29:30]
	s_movk_i32 s4, 0x288
	v_lshrrev_b32_e32 v24, 8, v26
	v_mad_u32_u24 v26, v24, s4, v25
	v_mad_u64_u32 v[24:25], s[0:1], s2, v26, 0
	global_store_dwordx4 v[20:21], v[12:15], off
	v_fma_f64 v[18:19], v[35:36], s[6:7], v[29:30]
	v_lshlrev_b64 v[12:13], 4, v[22:23]
	v_mov_b32_e32 v14, v25
	v_add_co_u32_e32 v12, vcc, v53, v12
	v_addc_co_u32_e32 v13, vcc, v54, v13, vcc
	global_store_dwordx4 v[12:13], v[8:11], off
	v_add_u32_e32 v12, 0x144, v26
	v_mad_u64_u32 v[14:15], s[0:1], s3, v26, v[14:15]
	v_mad_u64_u32 v[10:11], s[0:1], s2, v12, 0
	v_mov_b32_e32 v25, v14
	v_add_u32_e32 v14, 0x288, v26
	v_mad_u64_u32 v[11:12], s[0:1], s3, v12, v[11:12]
	v_lshlrev_b64 v[8:9], 4, v[24:25]
	v_mad_u64_u32 v[12:13], s[0:1], s2, v14, 0
	v_add_co_u32_e32 v8, vcc, v53, v8
	v_addc_co_u32_e32 v9, vcc, v54, v9, vcc
	global_store_dwordx4 v[8:9], v[4:7], off
	s_nop 0
	v_mov_b32_e32 v6, v13
	v_mad_u64_u32 v[6:7], s[0:1], s3, v14, v[6:7]
	v_lshlrev_b64 v[4:5], 4, v[10:11]
	v_add_co_u32_e32 v4, vcc, v53, v4
	v_addc_co_u32_e32 v5, vcc, v54, v5, vcc
	v_mov_b32_e32 v13, v6
	global_store_dwordx4 v[4:5], v[16:19], off
	v_lshlrev_b64 v[4:5], 4, v[12:13]
	v_add_co_u32_e32 v4, vcc, v53, v4
	v_addc_co_u32_e32 v5, vcc, v54, v5, vcc
	global_store_dwordx4 v[4:5], v[0:3], off
.LBB0_15:
	s_endpgm
	.section	.rodata,"a",@progbits
	.p2align	6, 0x0
	.amdhsa_kernel fft_rtc_back_len972_factors_3_6_3_6_3_wgs_162_tpt_162_halfLds_dp_ip_CI_sbrr_dirReg
		.amdhsa_group_segment_fixed_size 0
		.amdhsa_private_segment_fixed_size 0
		.amdhsa_kernarg_size 88
		.amdhsa_user_sgpr_count 6
		.amdhsa_user_sgpr_private_segment_buffer 1
		.amdhsa_user_sgpr_dispatch_ptr 0
		.amdhsa_user_sgpr_queue_ptr 0
		.amdhsa_user_sgpr_kernarg_segment_ptr 1
		.amdhsa_user_sgpr_dispatch_id 0
		.amdhsa_user_sgpr_flat_scratch_init 0
		.amdhsa_user_sgpr_private_segment_size 0
		.amdhsa_uses_dynamic_stack 0
		.amdhsa_system_sgpr_private_segment_wavefront_offset 0
		.amdhsa_system_sgpr_workgroup_id_x 1
		.amdhsa_system_sgpr_workgroup_id_y 0
		.amdhsa_system_sgpr_workgroup_id_z 0
		.amdhsa_system_sgpr_workgroup_info 0
		.amdhsa_system_vgpr_workitem_id 0
		.amdhsa_next_free_vgpr 55
		.amdhsa_next_free_sgpr 24
		.amdhsa_reserve_vcc 1
		.amdhsa_reserve_flat_scratch 0
		.amdhsa_float_round_mode_32 0
		.amdhsa_float_round_mode_16_64 0
		.amdhsa_float_denorm_mode_32 3
		.amdhsa_float_denorm_mode_16_64 3
		.amdhsa_dx10_clamp 1
		.amdhsa_ieee_mode 1
		.amdhsa_fp16_overflow 0
		.amdhsa_exception_fp_ieee_invalid_op 0
		.amdhsa_exception_fp_denorm_src 0
		.amdhsa_exception_fp_ieee_div_zero 0
		.amdhsa_exception_fp_ieee_overflow 0
		.amdhsa_exception_fp_ieee_underflow 0
		.amdhsa_exception_fp_ieee_inexact 0
		.amdhsa_exception_int_div_zero 0
	.end_amdhsa_kernel
	.text
.Lfunc_end0:
	.size	fft_rtc_back_len972_factors_3_6_3_6_3_wgs_162_tpt_162_halfLds_dp_ip_CI_sbrr_dirReg, .Lfunc_end0-fft_rtc_back_len972_factors_3_6_3_6_3_wgs_162_tpt_162_halfLds_dp_ip_CI_sbrr_dirReg
                                        ; -- End function
	.section	.AMDGPU.csdata,"",@progbits
; Kernel info:
; codeLenInByte = 5224
; NumSgprs: 28
; NumVgprs: 55
; ScratchSize: 0
; MemoryBound: 1
; FloatMode: 240
; IeeeMode: 1
; LDSByteSize: 0 bytes/workgroup (compile time only)
; SGPRBlocks: 3
; VGPRBlocks: 13
; NumSGPRsForWavesPerEU: 28
; NumVGPRsForWavesPerEU: 55
; Occupancy: 4
; WaveLimiterHint : 1
; COMPUTE_PGM_RSRC2:SCRATCH_EN: 0
; COMPUTE_PGM_RSRC2:USER_SGPR: 6
; COMPUTE_PGM_RSRC2:TRAP_HANDLER: 0
; COMPUTE_PGM_RSRC2:TGID_X_EN: 1
; COMPUTE_PGM_RSRC2:TGID_Y_EN: 0
; COMPUTE_PGM_RSRC2:TGID_Z_EN: 0
; COMPUTE_PGM_RSRC2:TIDIG_COMP_CNT: 0
	.type	__hip_cuid_836ebaa2d5dcf0f0,@object ; @__hip_cuid_836ebaa2d5dcf0f0
	.section	.bss,"aw",@nobits
	.globl	__hip_cuid_836ebaa2d5dcf0f0
__hip_cuid_836ebaa2d5dcf0f0:
	.byte	0                               ; 0x0
	.size	__hip_cuid_836ebaa2d5dcf0f0, 1

	.ident	"AMD clang version 19.0.0git (https://github.com/RadeonOpenCompute/llvm-project roc-6.4.0 25133 c7fe45cf4b819c5991fe208aaa96edf142730f1d)"
	.section	".note.GNU-stack","",@progbits
	.addrsig
	.addrsig_sym __hip_cuid_836ebaa2d5dcf0f0
	.amdgpu_metadata
---
amdhsa.kernels:
  - .args:
      - .actual_access:  read_only
        .address_space:  global
        .offset:         0
        .size:           8
        .value_kind:     global_buffer
      - .offset:         8
        .size:           8
        .value_kind:     by_value
      - .actual_access:  read_only
        .address_space:  global
        .offset:         16
        .size:           8
        .value_kind:     global_buffer
      - .actual_access:  read_only
        .address_space:  global
        .offset:         24
        .size:           8
        .value_kind:     global_buffer
      - .offset:         32
        .size:           8
        .value_kind:     by_value
      - .actual_access:  read_only
        .address_space:  global
        .offset:         40
        .size:           8
        .value_kind:     global_buffer
      - .actual_access:  read_only
        .address_space:  global
        .offset:         48
        .size:           8
        .value_kind:     global_buffer
      - .offset:         56
        .size:           4
        .value_kind:     by_value
      - .actual_access:  read_only
        .address_space:  global
        .offset:         64
        .size:           8
        .value_kind:     global_buffer
      - .actual_access:  read_only
        .address_space:  global
        .offset:         72
        .size:           8
        .value_kind:     global_buffer
      - .address_space:  global
        .offset:         80
        .size:           8
        .value_kind:     global_buffer
    .group_segment_fixed_size: 0
    .kernarg_segment_align: 8
    .kernarg_segment_size: 88
    .language:       OpenCL C
    .language_version:
      - 2
      - 0
    .max_flat_workgroup_size: 162
    .name:           fft_rtc_back_len972_factors_3_6_3_6_3_wgs_162_tpt_162_halfLds_dp_ip_CI_sbrr_dirReg
    .private_segment_fixed_size: 0
    .sgpr_count:     28
    .sgpr_spill_count: 0
    .symbol:         fft_rtc_back_len972_factors_3_6_3_6_3_wgs_162_tpt_162_halfLds_dp_ip_CI_sbrr_dirReg.kd
    .uniform_work_group_size: 1
    .uses_dynamic_stack: false
    .vgpr_count:     55
    .vgpr_spill_count: 0
    .wavefront_size: 64
amdhsa.target:   amdgcn-amd-amdhsa--gfx906
amdhsa.version:
  - 1
  - 2
...

	.end_amdgpu_metadata
